;; amdgpu-corpus repo=ROCm/rocFFT kind=compiled arch=gfx906 opt=O3
	.text
	.amdgcn_target "amdgcn-amd-amdhsa--gfx906"
	.amdhsa_code_object_version 6
	.protected	fft_rtc_back_len132_factors_11_6_2_wgs_110_tpt_22_sp_ip_CI_unitstride_sbrr_R2C_dirReg ; -- Begin function fft_rtc_back_len132_factors_11_6_2_wgs_110_tpt_22_sp_ip_CI_unitstride_sbrr_R2C_dirReg
	.globl	fft_rtc_back_len132_factors_11_6_2_wgs_110_tpt_22_sp_ip_CI_unitstride_sbrr_R2C_dirReg
	.p2align	8
	.type	fft_rtc_back_len132_factors_11_6_2_wgs_110_tpt_22_sp_ip_CI_unitstride_sbrr_R2C_dirReg,@function
fft_rtc_back_len132_factors_11_6_2_wgs_110_tpt_22_sp_ip_CI_unitstride_sbrr_R2C_dirReg: ; @fft_rtc_back_len132_factors_11_6_2_wgs_110_tpt_22_sp_ip_CI_unitstride_sbrr_R2C_dirReg
; %bb.0:
	s_load_dwordx2 s[2:3], s[4:5], 0x50
	s_load_dwordx4 s[8:11], s[4:5], 0x0
	s_load_dwordx2 s[12:13], s[4:5], 0x18
	v_mul_u32_u24_e32 v1, 0xba3, v0
	v_lshrrev_b32_e32 v1, 16, v1
	v_mad_u64_u32 v[1:2], s[0:1], s6, 5, v[1:2]
	v_mov_b32_e32 v5, 0
	s_waitcnt lgkmcnt(0)
	v_cmp_lt_u64_e64 s[0:1], s[10:11], 2
	v_mov_b32_e32 v2, v5
	v_mov_b32_e32 v3, 0
	;; [unrolled: 1-line block ×3, first 2 shown]
	s_and_b64 vcc, exec, s[0:1]
	v_mov_b32_e32 v4, 0
	v_mov_b32_e32 v9, v1
	s_cbranch_vccnz .LBB0_8
; %bb.1:
	s_load_dwordx2 s[0:1], s[4:5], 0x10
	s_add_u32 s6, s12, 8
	s_addc_u32 s7, s13, 0
	v_mov_b32_e32 v3, 0
	v_mov_b32_e32 v8, v2
	s_waitcnt lgkmcnt(0)
	s_add_u32 s16, s0, 8
	s_mov_b64 s[14:15], 1
	v_mov_b32_e32 v4, 0
	s_addc_u32 s17, s1, 0
	v_mov_b32_e32 v7, v1
.LBB0_2:                                ; =>This Inner Loop Header: Depth=1
	s_load_dwordx2 s[18:19], s[16:17], 0x0
                                        ; implicit-def: $vgpr9_vgpr10
	s_waitcnt lgkmcnt(0)
	v_or_b32_e32 v6, s19, v8
	v_cmp_ne_u64_e32 vcc, 0, v[5:6]
	s_and_saveexec_b64 s[0:1], vcc
	s_xor_b64 s[20:21], exec, s[0:1]
	s_cbranch_execz .LBB0_4
; %bb.3:                                ;   in Loop: Header=BB0_2 Depth=1
	v_cvt_f32_u32_e32 v2, s18
	v_cvt_f32_u32_e32 v6, s19
	s_sub_u32 s0, 0, s18
	s_subb_u32 s1, 0, s19
	v_mac_f32_e32 v2, 0x4f800000, v6
	v_rcp_f32_e32 v2, v2
	v_mul_f32_e32 v2, 0x5f7ffffc, v2
	v_mul_f32_e32 v6, 0x2f800000, v2
	v_trunc_f32_e32 v6, v6
	v_mac_f32_e32 v2, 0xcf800000, v6
	v_cvt_u32_f32_e32 v6, v6
	v_cvt_u32_f32_e32 v2, v2
	v_mul_lo_u32 v9, s0, v6
	v_mul_hi_u32 v10, s0, v2
	v_mul_lo_u32 v12, s1, v2
	v_mul_lo_u32 v11, s0, v2
	v_add_u32_e32 v9, v10, v9
	v_add_u32_e32 v9, v9, v12
	v_mul_hi_u32 v10, v2, v11
	v_mul_lo_u32 v12, v2, v9
	v_mul_hi_u32 v14, v2, v9
	v_mul_hi_u32 v13, v6, v11
	v_mul_lo_u32 v11, v6, v11
	v_mul_hi_u32 v15, v6, v9
	v_add_co_u32_e32 v10, vcc, v10, v12
	v_addc_co_u32_e32 v12, vcc, 0, v14, vcc
	v_mul_lo_u32 v9, v6, v9
	v_add_co_u32_e32 v10, vcc, v10, v11
	v_addc_co_u32_e32 v10, vcc, v12, v13, vcc
	v_addc_co_u32_e32 v11, vcc, 0, v15, vcc
	v_add_co_u32_e32 v9, vcc, v10, v9
	v_addc_co_u32_e32 v10, vcc, 0, v11, vcc
	v_add_co_u32_e32 v2, vcc, v2, v9
	v_addc_co_u32_e32 v6, vcc, v6, v10, vcc
	v_mul_lo_u32 v9, s0, v6
	v_mul_hi_u32 v10, s0, v2
	v_mul_lo_u32 v11, s1, v2
	v_mul_lo_u32 v12, s0, v2
	v_add_u32_e32 v9, v10, v9
	v_add_u32_e32 v9, v9, v11
	v_mul_lo_u32 v13, v2, v9
	v_mul_hi_u32 v14, v2, v12
	v_mul_hi_u32 v15, v2, v9
	;; [unrolled: 1-line block ×3, first 2 shown]
	v_mul_lo_u32 v12, v6, v12
	v_mul_hi_u32 v10, v6, v9
	v_add_co_u32_e32 v13, vcc, v14, v13
	v_addc_co_u32_e32 v14, vcc, 0, v15, vcc
	v_mul_lo_u32 v9, v6, v9
	v_add_co_u32_e32 v12, vcc, v13, v12
	v_addc_co_u32_e32 v11, vcc, v14, v11, vcc
	v_addc_co_u32_e32 v10, vcc, 0, v10, vcc
	v_add_co_u32_e32 v9, vcc, v11, v9
	v_addc_co_u32_e32 v10, vcc, 0, v10, vcc
	v_add_co_u32_e32 v2, vcc, v2, v9
	v_addc_co_u32_e32 v6, vcc, v6, v10, vcc
	v_mad_u64_u32 v[9:10], s[0:1], v7, v6, 0
	v_mul_hi_u32 v11, v7, v2
	v_add_co_u32_e32 v13, vcc, v11, v9
	v_addc_co_u32_e32 v14, vcc, 0, v10, vcc
	v_mad_u64_u32 v[9:10], s[0:1], v8, v2, 0
	v_mad_u64_u32 v[11:12], s[0:1], v8, v6, 0
	v_add_co_u32_e32 v2, vcc, v13, v9
	v_addc_co_u32_e32 v2, vcc, v14, v10, vcc
	v_addc_co_u32_e32 v6, vcc, 0, v12, vcc
	v_add_co_u32_e32 v2, vcc, v2, v11
	v_addc_co_u32_e32 v6, vcc, 0, v6, vcc
	v_mul_lo_u32 v11, s19, v2
	v_mul_lo_u32 v12, s18, v6
	v_mad_u64_u32 v[9:10], s[0:1], s18, v2, 0
	v_add3_u32 v10, v10, v12, v11
	v_sub_u32_e32 v11, v8, v10
	v_mov_b32_e32 v12, s19
	v_sub_co_u32_e32 v9, vcc, v7, v9
	v_subb_co_u32_e64 v11, s[0:1], v11, v12, vcc
	v_subrev_co_u32_e64 v12, s[0:1], s18, v9
	v_subbrev_co_u32_e64 v11, s[0:1], 0, v11, s[0:1]
	v_cmp_le_u32_e64 s[0:1], s19, v11
	v_cndmask_b32_e64 v13, 0, -1, s[0:1]
	v_cmp_le_u32_e64 s[0:1], s18, v12
	v_cndmask_b32_e64 v12, 0, -1, s[0:1]
	v_cmp_eq_u32_e64 s[0:1], s19, v11
	v_cndmask_b32_e64 v11, v13, v12, s[0:1]
	v_add_co_u32_e64 v12, s[0:1], 2, v2
	v_addc_co_u32_e64 v13, s[0:1], 0, v6, s[0:1]
	v_add_co_u32_e64 v14, s[0:1], 1, v2
	v_addc_co_u32_e64 v15, s[0:1], 0, v6, s[0:1]
	v_subb_co_u32_e32 v10, vcc, v8, v10, vcc
	v_cmp_ne_u32_e64 s[0:1], 0, v11
	v_cmp_le_u32_e32 vcc, s19, v10
	v_cndmask_b32_e64 v11, v15, v13, s[0:1]
	v_cndmask_b32_e64 v13, 0, -1, vcc
	v_cmp_le_u32_e32 vcc, s18, v9
	v_cndmask_b32_e64 v9, 0, -1, vcc
	v_cmp_eq_u32_e32 vcc, s19, v10
	v_cndmask_b32_e32 v9, v13, v9, vcc
	v_cmp_ne_u32_e32 vcc, 0, v9
	v_cndmask_b32_e32 v10, v6, v11, vcc
	v_cndmask_b32_e64 v6, v14, v12, s[0:1]
	v_cndmask_b32_e32 v9, v2, v6, vcc
.LBB0_4:                                ;   in Loop: Header=BB0_2 Depth=1
	s_andn2_saveexec_b64 s[0:1], s[20:21]
	s_cbranch_execz .LBB0_6
; %bb.5:                                ;   in Loop: Header=BB0_2 Depth=1
	v_cvt_f32_u32_e32 v2, s18
	s_sub_i32 s20, 0, s18
	v_rcp_iflag_f32_e32 v2, v2
	v_mul_f32_e32 v2, 0x4f7ffffe, v2
	v_cvt_u32_f32_e32 v2, v2
	v_mul_lo_u32 v6, s20, v2
	v_mul_hi_u32 v6, v2, v6
	v_add_u32_e32 v2, v2, v6
	v_mul_hi_u32 v2, v7, v2
	v_mul_lo_u32 v6, v2, s18
	v_add_u32_e32 v9, 1, v2
	v_sub_u32_e32 v6, v7, v6
	v_subrev_u32_e32 v10, s18, v6
	v_cmp_le_u32_e32 vcc, s18, v6
	v_cndmask_b32_e32 v6, v6, v10, vcc
	v_cndmask_b32_e32 v2, v2, v9, vcc
	v_add_u32_e32 v9, 1, v2
	v_cmp_le_u32_e32 vcc, s18, v6
	v_cndmask_b32_e32 v9, v2, v9, vcc
	v_mov_b32_e32 v10, v5
.LBB0_6:                                ;   in Loop: Header=BB0_2 Depth=1
	s_or_b64 exec, exec, s[0:1]
	v_mul_lo_u32 v2, v10, s18
	v_mul_lo_u32 v6, v9, s19
	v_mad_u64_u32 v[11:12], s[0:1], v9, s18, 0
	s_load_dwordx2 s[0:1], s[6:7], 0x0
	s_add_u32 s14, s14, 1
	v_add3_u32 v2, v12, v6, v2
	v_sub_co_u32_e32 v6, vcc, v7, v11
	v_subb_co_u32_e32 v2, vcc, v8, v2, vcc
	s_waitcnt lgkmcnt(0)
	v_mul_lo_u32 v2, s0, v2
	v_mul_lo_u32 v7, s1, v6
	v_mad_u64_u32 v[3:4], s[0:1], s0, v6, v[3:4]
	s_addc_u32 s15, s15, 0
	s_add_u32 s6, s6, 8
	v_add3_u32 v4, v7, v4, v2
	v_mov_b32_e32 v6, s10
	v_mov_b32_e32 v7, s11
	s_addc_u32 s7, s7, 0
	v_cmp_ge_u64_e32 vcc, s[14:15], v[6:7]
	s_add_u32 s16, s16, 8
	s_addc_u32 s17, s17, 0
	s_cbranch_vccnz .LBB0_8
; %bb.7:                                ;   in Loop: Header=BB0_2 Depth=1
	v_mov_b32_e32 v7, v9
	v_mov_b32_e32 v8, v10
	s_branch .LBB0_2
.LBB0_8:
	s_lshl_b64 s[0:1], s[10:11], 3
	s_add_u32 s0, s12, s0
	s_addc_u32 s1, s13, s1
	s_load_dwordx2 s[0:1], s[0:1], 0x0
	s_mov_b32 s6, 0xcccccccd
	v_mul_hi_u32 v5, v1, s6
	s_waitcnt lgkmcnt(0)
	v_mul_lo_u32 v6, s0, v10
	v_mul_lo_u32 v7, s1, v9
	v_mad_u64_u32 v[2:3], s[0:1], s0, v9, v[3:4]
	s_load_dwordx2 s[0:1], s[4:5], 0x20
	s_mov_b32 s4, 0xba2e8bb
	v_lshrrev_b32_e32 v4, 2, v5
	v_mul_hi_u32 v5, v0, s4
	v_lshl_add_u32 v4, v4, 2, v4
	v_add3_u32 v3, v7, v3, v6
	v_sub_u32_e32 v1, v1, v4
	v_mul_u32_u24_e32 v4, 22, v5
	v_mul_u32_u24_e32 v1, 0x85, v1
	s_waitcnt lgkmcnt(0)
	v_cmp_gt_u64_e32 vcc, s[0:1], v[9:10]
	v_sub_u32_e32 v20, v0, v4
	v_lshlrev_b64 v[22:23], 3, v[2:3]
	v_lshlrev_b32_e32 v30, 3, v1
	v_lshlrev_b32_e32 v27, 3, v20
	s_and_saveexec_b64 s[4:5], vcc
	s_cbranch_execz .LBB0_10
; %bb.9:
	v_mov_b32_e32 v21, 0
	v_mov_b32_e32 v0, s3
	v_add_co_u32_e64 v2, s[0:1], s2, v22
	v_addc_co_u32_e64 v3, s[0:1], v0, v23, s[0:1]
	v_lshlrev_b64 v[0:1], 3, v[20:21]
	v_add_co_u32_e64 v0, s[0:1], v2, v0
	v_addc_co_u32_e64 v1, s[0:1], v3, v1, s[0:1]
	global_load_dwordx2 v[2:3], v[0:1], off
	global_load_dwordx2 v[4:5], v[0:1], off offset:176
	global_load_dwordx2 v[6:7], v[0:1], off offset:352
	;; [unrolled: 1-line block ×5, first 2 shown]
	v_add3_u32 v0, 0, v30, v27
	s_waitcnt vmcnt(4)
	ds_write2_b64 v0, v[2:3], v[4:5] offset1:22
	s_waitcnt vmcnt(2)
	ds_write2_b64 v0, v[6:7], v[8:9] offset0:44 offset1:66
	s_waitcnt vmcnt(0)
	ds_write2_b64 v0, v[10:11], v[12:13] offset0:88 offset1:110
.LBB0_10:
	s_or_b64 exec, exec, s[4:5]
	v_add_u32_e32 v28, 0, v30
	v_add_u32_e32 v21, 0, v27
	;; [unrolled: 1-line block ×4, first 2 shown]
	s_waitcnt lgkmcnt(0)
	s_barrier
	ds_read_b64 v[24:25], v26
	ds_read2_b64 v[4:7], v29 offset0:12 offset1:24
	ds_read2_b64 v[16:19], v29 offset0:36 offset1:48
	;; [unrolled: 1-line block ×5, first 2 shown]
	v_cmp_gt_u32_e64 s[0:1], 12, v20
	s_waitcnt lgkmcnt(0)
	s_barrier
	s_and_saveexec_b64 s[4:5], s[0:1]
	s_cbranch_execz .LBB0_12
; %bb.11:
	v_add_f32_e32 v31, v25, v5
	v_add_f32_e32 v31, v31, v7
	;; [unrolled: 1-line block ×8, first 2 shown]
	v_sub_f32_e32 v36, v18, v12
	v_add_f32_e32 v38, v12, v18
	v_add_f32_e32 v18, v31, v1
	;; [unrolled: 1-line block ×4, first 2 shown]
	v_sub_f32_e32 v34, v16, v14
	v_add_f32_e32 v35, v13, v19
	v_add_f32_e32 v37, v14, v16
	v_sub_f32_e32 v16, v17, v15
	v_sub_f32_e32 v17, v19, v13
	v_add_f32_e32 v13, v18, v13
	v_add_f32_e32 v13, v13, v15
	;; [unrolled: 1-line block ×7, first 2 shown]
	v_sub_f32_e32 v31, v4, v10
	v_add_f32_e32 v15, v9, v7
	v_add_f32_e32 v39, v10, v4
	;; [unrolled: 1-line block ×3, first 2 shown]
	v_mul_f32_e32 v13, 0xbf75a155, v14
	v_sub_f32_e32 v32, v6, v8
	v_add_f32_e32 v40, v8, v6
	v_add_f32_e32 v6, v12, v8
	v_sub_f32_e32 v41, v0, v2
	v_add_f32_e32 v42, v2, v0
	v_mov_b32_e32 v0, v13
	v_mul_f32_e32 v43, 0x3f575c64, v15
	v_sub_f32_e32 v18, v5, v11
	v_add_f32_e32 v5, v4, v11
	v_add_f32_e32 v4, v6, v10
	;; [unrolled: 1-line block ×3, first 2 shown]
	v_sub_f32_e32 v12, v1, v3
	v_fmac_f32_e32 v0, 0x3e903f40, v31
	v_mov_b32_e32 v1, v43
	v_add_f32_e32 v0, v25, v0
	v_fmac_f32_e32 v1, 0xbf0a6770, v32
	v_mul_f32_e32 v44, 0xbf27a4f4, v33
	v_add_f32_e32 v0, v1, v0
	v_mov_b32_e32 v1, v44
	v_fmac_f32_e32 v1, 0x3f4178ce, v34
	v_mul_f32_e32 v45, 0x3ed4b147, v35
	v_add_f32_e32 v0, v1, v0
	v_mov_b32_e32 v1, v45
	v_sub_f32_e32 v19, v7, v9
	v_fmac_f32_e32 v1, 0xbf68dda4, v36
	v_mul_f32_e32 v46, 0xbe903f40, v18
	v_add_f32_e32 v0, v1, v0
	v_mov_b32_e32 v1, v46
	v_mul_f32_e32 v47, 0x3f0a6770, v19
	v_fmac_f32_e32 v1, 0xbf75a155, v39
	v_mov_b32_e32 v2, v47
	v_add_f32_e32 v1, v24, v1
	v_fmac_f32_e32 v2, 0x3f575c64, v40
	v_mul_f32_e32 v48, 0xbf4178ce, v16
	v_add_f32_e32 v1, v2, v1
	v_mov_b32_e32 v2, v48
	v_fmac_f32_e32 v2, 0xbf27a4f4, v37
	v_mul_f32_e32 v49, 0x3f68dda4, v17
	v_add_f32_e32 v1, v2, v1
	v_mov_b32_e32 v2, v49
	v_fmac_f32_e32 v2, 0x3ed4b147, v38
	v_mul_f32_e32 v50, 0xbe11bafb, v10
	v_add_f32_e32 v2, v2, v1
	v_mov_b32_e32 v1, v50
	v_fmac_f32_e32 v1, 0x3f7d64f0, v41
	v_mul_f32_e32 v51, 0xbf7d64f0, v12
	v_add_f32_e32 v1, v1, v0
	v_mov_b32_e32 v0, v51
	v_fmac_f32_e32 v0, 0xbe11bafb, v42
	v_mul_f32_e32 v52, 0xbf27a4f4, v14
	v_add_f32_e32 v0, v0, v2
	v_mov_b32_e32 v2, v52
	v_mul_f32_e32 v53, 0xbe11bafb, v15
	v_fmac_f32_e32 v2, 0x3f4178ce, v31
	v_mov_b32_e32 v3, v53
	v_add_f32_e32 v2, v25, v2
	v_fmac_f32_e32 v3, 0xbf7d64f0, v32
	v_mul_f32_e32 v54, 0x3f575c64, v33
	v_add_f32_e32 v2, v3, v2
	v_mov_b32_e32 v3, v54
	v_fmac_f32_e32 v3, 0x3f0a6770, v34
	v_mul_f32_e32 v55, 0xbf75a155, v35
	v_add_f32_e32 v2, v3, v2
	v_mov_b32_e32 v3, v55
	v_fmac_f32_e32 v3, 0x3e903f40, v36
	v_mul_f32_e32 v56, 0xbf4178ce, v18
	v_add_f32_e32 v2, v3, v2
	v_mov_b32_e32 v3, v56
	v_mul_f32_e32 v57, 0x3f7d64f0, v19
	v_fmac_f32_e32 v3, 0xbf27a4f4, v39
	v_mov_b32_e32 v6, v57
	v_add_f32_e32 v3, v24, v3
	v_fmac_f32_e32 v6, 0xbe11bafb, v40
	v_mul_f32_e32 v58, 0xbf0a6770, v16
	v_add_f32_e32 v3, v6, v3
	v_mov_b32_e32 v6, v58
	v_fmac_f32_e32 v6, 0x3f575c64, v37
	v_mul_f32_e32 v59, 0xbe903f40, v17
	v_add_f32_e32 v3, v6, v3
	v_mov_b32_e32 v6, v59
	v_fmac_f32_e32 v6, 0xbf75a155, v38
	v_mul_f32_e32 v60, 0x3ed4b147, v10
	v_add_f32_e32 v6, v6, v3
	v_mov_b32_e32 v3, v60
	v_fmac_f32_e32 v3, 0xbf68dda4, v41
	v_mul_f32_e32 v61, 0x3f68dda4, v12
	v_add_f32_e32 v3, v3, v2
	v_mov_b32_e32 v2, v61
	v_fmac_f32_e32 v2, 0x3ed4b147, v42
	v_mul_f32_e32 v62, 0xbe11bafb, v14
	v_add_f32_e32 v2, v2, v6
	v_mov_b32_e32 v6, v62
	v_mul_f32_e32 v63, 0xbf75a155, v15
	v_fmac_f32_e32 v6, 0x3f7d64f0, v31
	v_mov_b32_e32 v7, v63
	v_add_f32_e32 v6, v25, v6
	v_fmac_f32_e32 v7, 0xbe903f40, v32
	v_mul_f32_e32 v64, 0x3ed4b147, v33
	v_add_f32_e32 v6, v7, v6
	v_mov_b32_e32 v7, v64
	v_fmac_f32_e32 v7, 0xbf68dda4, v34
	v_mul_f32_e32 v65, 0x3f575c64, v35
	v_add_f32_e32 v6, v7, v6
	v_mov_b32_e32 v7, v65
	;; [unrolled: 40-line block ×4, first 2 shown]
	v_fmac_f32_e32 v14, 0x3f4178ce, v36
	v_mul_f32_e32 v84, 0xbf0a6770, v18
	v_add_f32_e32 v11, v14, v11
	v_mov_b32_e32 v14, v84
	v_mul_f32_e32 v85, 0xbf68dda4, v19
	v_fmac_f32_e32 v14, 0x3f575c64, v39
	v_mov_b32_e32 v15, v85
	v_add_f32_e32 v14, v24, v14
	v_fmac_f32_e32 v15, 0x3ed4b147, v40
	v_mul_f32_e32 v86, 0xbf7d64f0, v16
	v_add_f32_e32 v14, v15, v14
	v_mov_b32_e32 v15, v86
	v_mul_f32_e32 v88, 0xbf75a155, v10
	v_fmac_f32_e32 v15, 0xbe11bafb, v37
	v_mul_f32_e32 v87, 0xbf4178ce, v17
	v_mov_b32_e32 v10, v88
	v_add_f32_e32 v14, v15, v14
	v_mov_b32_e32 v15, v87
	v_fmac_f32_e32 v10, 0x3e903f40, v41
	v_mul_f32_e32 v89, 0xbe903f40, v12
	v_fmac_f32_e32 v15, 0xbf27a4f4, v38
	v_add_f32_e32 v11, v10, v11
	v_mov_b32_e32 v10, v89
	v_fmac_f32_e32 v13, 0xbe903f40, v31
	s_mov_b32 s0, 0xbf75a155
	v_add_f32_e32 v14, v15, v14
	v_fmac_f32_e32 v10, 0xbf75a155, v42
	v_add_f32_e32 v12, v25, v13
	v_fmac_f32_e32 v43, 0x3f0a6770, v32
	s_mov_b32 s1, 0x3f575c64
	v_fma_f32 v13, v39, s0, -v46
	v_add_f32_e32 v10, v10, v14
	v_add_f32_e32 v12, v43, v12
	v_fmac_f32_e32 v44, 0xbf4178ce, v34
	v_add_f32_e32 v13, v24, v13
	v_fma_f32 v14, v40, s1, -v47
	s_mov_b32 s6, 0xbf27a4f4
	v_add_f32_e32 v12, v44, v12
	v_fmac_f32_e32 v45, 0x3f68dda4, v36
	v_add_f32_e32 v13, v14, v13
	v_fma_f32 v14, v37, s6, -v48
	s_mov_b32 s7, 0x3ed4b147
	v_add_f32_e32 v12, v45, v12
	v_add_f32_e32 v13, v14, v13
	v_fma_f32 v14, v38, s7, -v49
	s_mov_b32 s10, 0xbe11bafb
	v_fmac_f32_e32 v50, 0xbf7d64f0, v41
	v_add_f32_e32 v14, v14, v13
	v_add_f32_e32 v13, v50, v12
	v_fma_f32 v12, v42, s10, -v51
	v_fmac_f32_e32 v52, 0xbf4178ce, v31
	v_add_f32_e32 v12, v12, v14
	v_add_f32_e32 v14, v25, v52
	v_fmac_f32_e32 v53, 0x3f7d64f0, v32
	v_fma_f32 v15, v39, s6, -v56
	v_add_f32_e32 v14, v53, v14
	v_fmac_f32_e32 v54, 0xbf0a6770, v34
	v_add_f32_e32 v15, v24, v15
	v_fma_f32 v16, v40, s10, -v57
	v_add_f32_e32 v14, v54, v14
	v_fmac_f32_e32 v55, 0xbe903f40, v36
	v_add_f32_e32 v15, v16, v15
	v_fma_f32 v16, v37, s1, -v58
	v_add_f32_e32 v14, v55, v14
	v_add_f32_e32 v15, v16, v15
	v_fma_f32 v16, v38, s0, -v59
	v_fmac_f32_e32 v60, 0x3f68dda4, v41
	v_add_f32_e32 v16, v16, v15
	v_add_f32_e32 v15, v60, v14
	v_fma_f32 v14, v42, s7, -v61
	v_fmac_f32_e32 v62, 0xbf7d64f0, v31
	v_add_f32_e32 v14, v14, v16
	v_add_f32_e32 v16, v25, v62
	v_fmac_f32_e32 v63, 0x3e903f40, v32
	v_fma_f32 v17, v39, s10, -v66
	v_add_f32_e32 v16, v63, v16
	v_fmac_f32_e32 v64, 0x3f68dda4, v34
	v_add_f32_e32 v17, v24, v17
	v_fma_f32 v18, v40, s0, -v67
	v_add_f32_e32 v16, v64, v16
	v_fmac_f32_e32 v65, 0xbf0a6770, v36
	v_add_f32_e32 v17, v18, v17
	v_fma_f32 v18, v37, s7, -v68
	v_add_f32_e32 v16, v65, v16
	v_add_f32_e32 v17, v18, v17
	v_fma_f32 v18, v38, s1, -v69
	v_fmac_f32_e32 v70, 0xbf4178ce, v41
	v_fmac_f32_e32 v72, 0xbf68dda4, v31
	v_fma_f32 v19, v39, s7, -v76
	v_fmac_f32_e32 v82, 0xbf0a6770, v31
	v_fma_f32 v31, v39, s1, -v84
	v_add_f32_e32 v18, v18, v17
	v_add_f32_e32 v17, v70, v16
	v_fma_f32 v16, v42, s6, -v71
	v_add_f32_e32 v19, v24, v19
	v_add_f32_e32 v24, v24, v31
	;; [unrolled: 3-line block ×3, first 2 shown]
	v_fmac_f32_e32 v73, 0xbf4178ce, v32
	v_add_f32_e32 v24, v31, v24
	v_fma_f32 v31, v37, s10, -v86
	v_add_f32_e32 v18, v73, v18
	v_fmac_f32_e32 v74, 0x3e903f40, v34
	v_fma_f32 v43, v40, s6, -v77
	v_add_f32_e32 v25, v25, v82
	v_fmac_f32_e32 v83, 0xbf68dda4, v32
	v_add_f32_e32 v24, v31, v24
	v_fma_f32 v31, v38, s6, -v87
	v_add_f32_e32 v18, v74, v18
	v_fmac_f32_e32 v75, 0x3f7d64f0, v36
	v_add_f32_e32 v19, v43, v19
	;; [unrolled: 4-line block ×3, first 2 shown]
	v_fma_f32 v31, v42, s0, -v89
	v_add_f32_e32 v18, v75, v18
	v_add_f32_e32 v19, v43, v19
	v_fma_f32 v43, v38, s10, -v79
	v_fmac_f32_e32 v80, 0x3f0a6770, v41
	v_add_f32_e32 v25, v33, v25
	v_fmac_f32_e32 v35, 0xbf4178ce, v36
	v_add_f32_e32 v24, v31, v24
	v_mul_u32_u24_e32 v31, 0x50, v20
	v_add_f32_e32 v43, v43, v19
	v_add_f32_e32 v19, v80, v18
	v_fma_f32 v18, v42, s1, -v81
	v_add_f32_e32 v25, v35, v25
	v_fmac_f32_e32 v88, 0xbe903f40, v41
	v_add3_u32 v21, v21, v31, v30
	v_add_f32_e32 v18, v18, v43
	v_add_f32_e32 v25, v88, v25
	ds_write2_b64 v21, v[4:5], v[10:11] offset1:1
	ds_write2_b64 v21, v[8:9], v[6:7] offset0:2 offset1:3
	ds_write2_b64 v21, v[2:3], v[0:1] offset0:4 offset1:5
	;; [unrolled: 1-line block ×4, first 2 shown]
	ds_write_b64 v21, v[24:25] offset:80
.LBB0_12:
	s_or_b64 exec, exec, s[4:5]
	v_add_u32_e32 v0, -11, v20
	v_cmp_gt_u32_e64 s[0:1], 11, v20
	v_cndmask_b32_e64 v19, v0, v20, s[0:1]
	v_mul_i32_i24_e32 v15, 5, v19
	v_mov_b32_e32 v16, 0
	v_lshlrev_b64 v[0:1], 3, v[15:16]
	v_mov_b32_e32 v33, s9
	v_add_co_u32_e64 v8, s[0:1], s8, v0
	v_addc_co_u32_e64 v9, s[0:1], v33, v1, s[0:1]
	s_waitcnt lgkmcnt(0)
	s_barrier
	global_load_dwordx4 v[0:3], v[8:9], off
	global_load_dwordx4 v[4:7], v[8:9], off offset:16
	global_load_dwordx2 v[17:18], v[8:9], off offset:32
	ds_read2_b64 v[8:11], v29 offset0:22 offset1:44
	ds_read2_b64 v[12:15], v29 offset0:66 offset1:88
	ds_read_b64 v[24:25], v26
	ds_read_b64 v[31:32], v29 offset:880
	v_cmp_lt_u32_e64 s[0:1], 10, v20
	s_waitcnt vmcnt(0) lgkmcnt(0)
	s_barrier
	v_mul_f32_e32 v21, v1, v9
	v_mul_f32_e32 v1, v1, v8
	;; [unrolled: 1-line block ×9, first 2 shown]
	v_fmac_f32_e32 v21, v0, v8
	v_fma_f32 v8, v0, v9, -v1
	v_fma_f32 v0, v2, v11, -v3
	;; [unrolled: 1-line block ×4, first 2 shown]
	v_fmac_f32_e32 v34, v2, v10
	v_fmac_f32_e32 v35, v4, v12
	;; [unrolled: 1-line block ×4, first 2 shown]
	v_sub_f32_e32 v12, v1, v3
	v_add_f32_e32 v13, v8, v1
	v_add_f32_e32 v1, v1, v3
	v_mul_f32_e32 v7, v7, v14
	v_add_f32_e32 v5, v34, v36
	v_add_f32_e32 v11, v35, v37
	v_fmac_f32_e32 v8, -0.5, v1
	v_fma_f32 v2, v6, v15, -v7
	v_add_f32_e32 v7, v25, v0
	v_add_f32_e32 v10, v21, v35
	v_sub_f32_e32 v14, v35, v37
	v_fma_f32 v15, -0.5, v5, v24
	v_fmac_f32_e32 v21, -0.5, v11
	v_add_f32_e32 v3, v13, v3
	v_mov_b32_e32 v13, v8
	v_sub_f32_e32 v6, v0, v2
	v_add_f32_e32 v0, v0, v2
	v_add_f32_e32 v5, v7, v2
	;; [unrolled: 1-line block ×3, first 2 shown]
	v_mov_b32_e32 v10, v15
	v_mov_b32_e32 v7, v21
	v_fmac_f32_e32 v8, 0xbf5db3d7, v14
	v_fmac_f32_e32 v13, 0x3f5db3d7, v14
	v_sub_f32_e32 v9, v34, v36
	v_fmac_f32_e32 v25, -0.5, v0
	v_fmac_f32_e32 v15, 0x3f5db3d7, v6
	v_fmac_f32_e32 v21, 0x3f5db3d7, v12
	;; [unrolled: 1-line block ×4, first 2 shown]
	v_mul_f32_e32 v6, 0xbf5db3d7, v8
	v_mul_f32_e32 v8, -0.5, v8
	v_mul_f32_e32 v12, 0xbf5db3d7, v13
	v_mov_b32_e32 v11, v25
	v_fmac_f32_e32 v25, 0xbf5db3d7, v9
	v_mul_f32_e32 v13, 0.5, v13
	v_fmac_f32_e32 v8, 0x3f5db3d7, v21
	v_fmac_f32_e32 v12, 0.5, v7
	v_add_f32_e32 v1, v5, v3
	v_sub_f32_e32 v3, v5, v3
	v_fmac_f32_e32 v13, 0x3f5db3d7, v7
	v_add_f32_e32 v5, v25, v8
	v_sub_f32_e32 v7, v25, v8
	v_add_f32_e32 v8, v10, v12
	v_sub_f32_e32 v10, v10, v12
	v_mov_b32_e32 v12, 0x210
	v_add_f32_e32 v4, v24, v34
	v_fmac_f32_e32 v11, 0x3f5db3d7, v9
	v_cndmask_b32_e64 v12, 0, v12, s[0:1]
	v_add_f32_e32 v4, v4, v36
	v_add_f32_e32 v9, v11, v13
	v_sub_f32_e32 v11, v11, v13
	v_add_u32_e32 v12, 0, v12
	v_lshlrev_b32_e32 v13, 3, v19
	v_add_f32_e32 v0, v4, v2
	v_fmac_f32_e32 v6, -0.5, v21
	v_add3_u32 v12, v12, v13, v30
	v_mov_b32_e32 v21, v16
	v_sub_f32_e32 v2, v4, v2
	v_add_f32_e32 v4, v15, v6
	v_sub_f32_e32 v6, v15, v6
	ds_write2_b64 v12, v[0:1], v[8:9] offset1:11
	ds_write2_b64 v12, v[4:5], v[2:3] offset0:22 offset1:33
	ds_write2_b64 v12, v[10:11], v[6:7] offset0:44 offset1:55
	v_lshlrev_b64 v[0:1], 3, v[20:21]
	s_waitcnt lgkmcnt(0)
	v_add_co_u32_e64 v2, s[0:1], s8, v0
	v_addc_co_u32_e64 v3, s[0:1], v33, v1, s[0:1]
	s_barrier
	global_load_dwordx2 v[12:13], v[2:3], off offset:440
	global_load_dwordx2 v[14:15], v[2:3], off offset:616
	;; [unrolled: 1-line block ×3, first 2 shown]
	ds_read2_b64 v[4:7], v29 offset0:66 offset1:88
	ds_read2_b64 v[8:11], v29 offset0:22 offset1:44
	ds_read_b64 v[18:19], v26
	ds_read_b64 v[24:25], v29 offset:880
	s_waitcnt vmcnt(0) lgkmcnt(0)
	s_barrier
	v_cmp_ne_u32_e64 s[0:1], 0, v20
	v_mul_f32_e32 v21, v13, v5
	v_mul_f32_e32 v13, v13, v4
	;; [unrolled: 1-line block ×6, first 2 shown]
	v_fmac_f32_e32 v21, v12, v4
	v_fma_f32 v5, v12, v5, -v13
	v_fmac_f32_e32 v30, v14, v6
	v_fma_f32 v7, v14, v7, -v15
	;; [unrolled: 2-line block ×3, first 2 shown]
	v_sub_f32_e32 v4, v18, v21
	v_sub_f32_e32 v5, v19, v5
	;; [unrolled: 1-line block ×6, first 2 shown]
	v_fma_f32 v14, v18, 2.0, -v4
	v_fma_f32 v15, v19, 2.0, -v5
	;; [unrolled: 1-line block ×6, first 2 shown]
	ds_write2_b64 v29, v[6:7], v[12:13] offset0:88 offset1:110
	ds_write2_b64 v29, v[14:15], v[8:9] offset1:22
	ds_write2_b64 v29, v[10:11], v[4:5] offset0:44 offset1:66
	s_waitcnt lgkmcnt(0)
	s_barrier
	ds_read_b64 v[4:5], v26
	v_sub_u32_e32 v6, v28, v27
                                        ; implicit-def: $vgpr8
                                        ; implicit-def: $vgpr7
	s_and_saveexec_b64 s[4:5], s[0:1]
	s_xor_b64 s[0:1], exec, s[4:5]
	s_cbranch_execz .LBB0_14
; %bb.13:
	global_load_dwordx2 v[2:3], v[2:3], off offset:968
	ds_read_b64 v[7:8], v6 offset:1056
                                        ; implicit-def: $vgpr28
	s_waitcnt lgkmcnt(0)
	v_add_f32_e32 v9, v7, v4
	v_add_f32_e32 v10, v8, v5
	v_sub_f32_e32 v4, v4, v7
	v_sub_f32_e32 v5, v5, v8
	v_mul_f32_e32 v8, 0.5, v10
	v_mul_f32_e32 v4, 0.5, v4
	;; [unrolled: 1-line block ×3, first 2 shown]
	s_waitcnt vmcnt(0)
	v_mul_f32_e32 v10, v3, v4
	v_fma_f32 v11, v8, v3, v5
	v_fma_f32 v3, v8, v3, -v5
	v_fma_f32 v7, 0.5, v9, v10
	v_fma_f32 v5, -v2, v4, v11
	v_fma_f32 v9, v9, 0.5, -v10
	v_fma_f32 v3, -v2, v4, v3
	v_fmac_f32_e32 v7, v2, v8
	ds_write_b32 v26, v5 offset:4
	v_fma_f32 v8, -v2, v8, v9
	ds_write_b32 v6, v3 offset:1060
                                        ; implicit-def: $vgpr4_vgpr5
.LBB0_14:
	s_andn2_saveexec_b64 s[0:1], s[0:1]
	s_cbranch_execz .LBB0_16
; %bb.15:
	v_mov_b32_e32 v2, 0
	ds_write_b32 v26, v2 offset:4
	ds_write_b32 v6, v2 offset:1060
	ds_read_b32 v2, v28 offset:532
	s_waitcnt lgkmcnt(3)
	v_add_f32_e32 v7, v4, v5
	v_sub_f32_e32 v8, v4, v5
	s_waitcnt lgkmcnt(0)
	v_xor_b32_e32 v2, 0x80000000, v2
	ds_write_b32 v28, v2 offset:532
.LBB0_16:
	s_or_b64 exec, exec, s[0:1]
	s_add_u32 s0, s8, 0x3c8
	s_addc_u32 s1, s9, 0
	v_mov_b32_e32 v3, s1
	v_add_co_u32_e64 v2, s[0:1], s0, v0
	v_addc_co_u32_e64 v3, s[0:1], v3, v1, s[0:1]
	s_waitcnt lgkmcnt(0)
	global_load_dwordx2 v[4:5], v[2:3], off offset:176
	global_load_dwordx2 v[9:10], v[2:3], off offset:352
	ds_write_b32 v26, v7
	ds_write_b32 v6, v8 offset:1056
	ds_read_b64 v[2:3], v26 offset:176
	ds_read_b64 v[7:8], v6 offset:880
	s_waitcnt lgkmcnt(0)
	v_add_f32_e32 v11, v2, v7
	v_sub_f32_e32 v2, v2, v7
	v_add_f32_e32 v12, v3, v8
	v_sub_f32_e32 v3, v3, v8
	v_mul_f32_e32 v2, 0.5, v2
	v_mul_f32_e32 v7, 0.5, v12
	;; [unrolled: 1-line block ×3, first 2 shown]
	s_waitcnt vmcnt(1)
	v_mul_f32_e32 v8, v5, v2
	v_fma_f32 v12, v7, v5, v3
	v_fma_f32 v3, v7, v5, -v3
	v_fma_f32 v5, 0.5, v11, v8
	v_fma_f32 v12, -v4, v2, v12
	v_fma_f32 v8, v11, 0.5, -v8
	v_fmac_f32_e32 v5, v4, v7
	v_fma_f32 v3, -v4, v2, v3
	v_fma_f32 v2, -v4, v7, v8
	ds_write2_b32 v26, v5, v12 offset0:44 offset1:45
	ds_write_b64 v6, v[2:3] offset:880
	ds_read_b64 v[2:3], v26 offset:352
	ds_read_b64 v[4:5], v6 offset:704
	s_waitcnt lgkmcnt(0)
	v_add_f32_e32 v7, v2, v4
	v_sub_f32_e32 v2, v2, v4
	v_add_f32_e32 v8, v3, v5
	v_sub_f32_e32 v3, v3, v5
	v_mul_f32_e32 v2, 0.5, v2
	v_mul_f32_e32 v4, 0.5, v8
	;; [unrolled: 1-line block ×3, first 2 shown]
	s_waitcnt vmcnt(0)
	v_mul_f32_e32 v5, v10, v2
	v_fma_f32 v8, v4, v10, v3
	v_fma_f32 v3, v4, v10, -v3
	v_fma_f32 v10, 0.5, v7, v5
	v_fma_f32 v8, -v9, v2, v8
	v_fma_f32 v5, v7, 0.5, -v5
	v_fmac_f32_e32 v10, v9, v4
	v_fma_f32 v3, -v9, v2, v3
	v_fma_f32 v2, -v9, v4, v5
	ds_write2_b32 v26, v10, v8 offset0:88 offset1:89
	ds_write_b64 v6, v[2:3] offset:704
	s_waitcnt lgkmcnt(0)
	s_barrier
	s_and_saveexec_b64 s[0:1], vcc
	s_cbranch_execz .LBB0_19
; %bb.17:
	ds_read2_b64 v[4:7], v26 offset1:22
	v_mov_b32_e32 v3, s3
	v_add_co_u32_e32 v2, vcc, s2, v22
	v_addc_co_u32_e32 v3, vcc, v3, v23, vcc
	ds_read2_b64 v[8:11], v26 offset0:44 offset1:66
	v_add_co_u32_e32 v0, vcc, v2, v0
	v_addc_co_u32_e32 v1, vcc, v3, v1, vcc
	ds_read2_b64 v[12:15], v26 offset0:88 offset1:110
	v_cmp_eq_u32_e32 vcc, 21, v20
	s_waitcnt lgkmcnt(2)
	global_store_dwordx2 v[0:1], v[4:5], off
	global_store_dwordx2 v[0:1], v[6:7], off offset:176
	s_waitcnt lgkmcnt(1)
	global_store_dwordx2 v[0:1], v[8:9], off offset:352
	global_store_dwordx2 v[0:1], v[10:11], off offset:528
	s_waitcnt lgkmcnt(0)
	global_store_dwordx2 v[0:1], v[12:13], off offset:704
	global_store_dwordx2 v[0:1], v[14:15], off offset:880
	s_and_b64 exec, exec, vcc
	s_cbranch_execz .LBB0_19
; %bb.18:
	ds_read_b64 v[0:1], v26 offset:888
	s_waitcnt lgkmcnt(0)
	global_store_dwordx2 v[2:3], v[0:1], off offset:1056
.LBB0_19:
	s_endpgm
	.section	.rodata,"a",@progbits
	.p2align	6, 0x0
	.amdhsa_kernel fft_rtc_back_len132_factors_11_6_2_wgs_110_tpt_22_sp_ip_CI_unitstride_sbrr_R2C_dirReg
		.amdhsa_group_segment_fixed_size 0
		.amdhsa_private_segment_fixed_size 0
		.amdhsa_kernarg_size 88
		.amdhsa_user_sgpr_count 6
		.amdhsa_user_sgpr_private_segment_buffer 1
		.amdhsa_user_sgpr_dispatch_ptr 0
		.amdhsa_user_sgpr_queue_ptr 0
		.amdhsa_user_sgpr_kernarg_segment_ptr 1
		.amdhsa_user_sgpr_dispatch_id 0
		.amdhsa_user_sgpr_flat_scratch_init 0
		.amdhsa_user_sgpr_private_segment_size 0
		.amdhsa_uses_dynamic_stack 0
		.amdhsa_system_sgpr_private_segment_wavefront_offset 0
		.amdhsa_system_sgpr_workgroup_id_x 1
		.amdhsa_system_sgpr_workgroup_id_y 0
		.amdhsa_system_sgpr_workgroup_id_z 0
		.amdhsa_system_sgpr_workgroup_info 0
		.amdhsa_system_vgpr_workitem_id 0
		.amdhsa_next_free_vgpr 90
		.amdhsa_next_free_sgpr 22
		.amdhsa_reserve_vcc 1
		.amdhsa_reserve_flat_scratch 0
		.amdhsa_float_round_mode_32 0
		.amdhsa_float_round_mode_16_64 0
		.amdhsa_float_denorm_mode_32 3
		.amdhsa_float_denorm_mode_16_64 3
		.amdhsa_dx10_clamp 1
		.amdhsa_ieee_mode 1
		.amdhsa_fp16_overflow 0
		.amdhsa_exception_fp_ieee_invalid_op 0
		.amdhsa_exception_fp_denorm_src 0
		.amdhsa_exception_fp_ieee_div_zero 0
		.amdhsa_exception_fp_ieee_overflow 0
		.amdhsa_exception_fp_ieee_underflow 0
		.amdhsa_exception_fp_ieee_inexact 0
		.amdhsa_exception_int_div_zero 0
	.end_amdhsa_kernel
	.text
.Lfunc_end0:
	.size	fft_rtc_back_len132_factors_11_6_2_wgs_110_tpt_22_sp_ip_CI_unitstride_sbrr_R2C_dirReg, .Lfunc_end0-fft_rtc_back_len132_factors_11_6_2_wgs_110_tpt_22_sp_ip_CI_unitstride_sbrr_R2C_dirReg
                                        ; -- End function
	.section	.AMDGPU.csdata,"",@progbits
; Kernel info:
; codeLenInByte = 5032
; NumSgprs: 26
; NumVgprs: 90
; ScratchSize: 0
; MemoryBound: 0
; FloatMode: 240
; IeeeMode: 1
; LDSByteSize: 0 bytes/workgroup (compile time only)
; SGPRBlocks: 3
; VGPRBlocks: 22
; NumSGPRsForWavesPerEU: 26
; NumVGPRsForWavesPerEU: 90
; Occupancy: 2
; WaveLimiterHint : 1
; COMPUTE_PGM_RSRC2:SCRATCH_EN: 0
; COMPUTE_PGM_RSRC2:USER_SGPR: 6
; COMPUTE_PGM_RSRC2:TRAP_HANDLER: 0
; COMPUTE_PGM_RSRC2:TGID_X_EN: 1
; COMPUTE_PGM_RSRC2:TGID_Y_EN: 0
; COMPUTE_PGM_RSRC2:TGID_Z_EN: 0
; COMPUTE_PGM_RSRC2:TIDIG_COMP_CNT: 0
	.type	__hip_cuid_8ca94b5e5dce4d30,@object ; @__hip_cuid_8ca94b5e5dce4d30
	.section	.bss,"aw",@nobits
	.globl	__hip_cuid_8ca94b5e5dce4d30
__hip_cuid_8ca94b5e5dce4d30:
	.byte	0                               ; 0x0
	.size	__hip_cuid_8ca94b5e5dce4d30, 1

	.ident	"AMD clang version 19.0.0git (https://github.com/RadeonOpenCompute/llvm-project roc-6.4.0 25133 c7fe45cf4b819c5991fe208aaa96edf142730f1d)"
	.section	".note.GNU-stack","",@progbits
	.addrsig
	.addrsig_sym __hip_cuid_8ca94b5e5dce4d30
	.amdgpu_metadata
---
amdhsa.kernels:
  - .args:
      - .actual_access:  read_only
        .address_space:  global
        .offset:         0
        .size:           8
        .value_kind:     global_buffer
      - .offset:         8
        .size:           8
        .value_kind:     by_value
      - .actual_access:  read_only
        .address_space:  global
        .offset:         16
        .size:           8
        .value_kind:     global_buffer
      - .actual_access:  read_only
        .address_space:  global
        .offset:         24
        .size:           8
        .value_kind:     global_buffer
      - .offset:         32
        .size:           8
        .value_kind:     by_value
      - .actual_access:  read_only
        .address_space:  global
        .offset:         40
        .size:           8
        .value_kind:     global_buffer
      - .actual_access:  read_only
        .address_space:  global
        .offset:         48
        .size:           8
        .value_kind:     global_buffer
      - .offset:         56
        .size:           4
        .value_kind:     by_value
      - .actual_access:  read_only
        .address_space:  global
        .offset:         64
        .size:           8
        .value_kind:     global_buffer
      - .actual_access:  read_only
        .address_space:  global
        .offset:         72
        .size:           8
        .value_kind:     global_buffer
      - .address_space:  global
        .offset:         80
        .size:           8
        .value_kind:     global_buffer
    .group_segment_fixed_size: 0
    .kernarg_segment_align: 8
    .kernarg_segment_size: 88
    .language:       OpenCL C
    .language_version:
      - 2
      - 0
    .max_flat_workgroup_size: 110
    .name:           fft_rtc_back_len132_factors_11_6_2_wgs_110_tpt_22_sp_ip_CI_unitstride_sbrr_R2C_dirReg
    .private_segment_fixed_size: 0
    .sgpr_count:     26
    .sgpr_spill_count: 0
    .symbol:         fft_rtc_back_len132_factors_11_6_2_wgs_110_tpt_22_sp_ip_CI_unitstride_sbrr_R2C_dirReg.kd
    .uniform_work_group_size: 1
    .uses_dynamic_stack: false
    .vgpr_count:     90
    .vgpr_spill_count: 0
    .wavefront_size: 64
amdhsa.target:   amdgcn-amd-amdhsa--gfx906
amdhsa.version:
  - 1
  - 2
...

	.end_amdgpu_metadata
